;; amdgpu-corpus repo=ROCm/rocFFT kind=compiled arch=gfx906 opt=O3
	.text
	.amdgcn_target "amdgcn-amd-amdhsa--gfx906"
	.amdhsa_code_object_version 6
	.protected	fft_rtc_fwd_len1728_factors_3_6_6_16_wgs_108_tpt_108_halfLds_half_ip_CI_unitstride_sbrr_dirReg ; -- Begin function fft_rtc_fwd_len1728_factors_3_6_6_16_wgs_108_tpt_108_halfLds_half_ip_CI_unitstride_sbrr_dirReg
	.globl	fft_rtc_fwd_len1728_factors_3_6_6_16_wgs_108_tpt_108_halfLds_half_ip_CI_unitstride_sbrr_dirReg
	.p2align	8
	.type	fft_rtc_fwd_len1728_factors_3_6_6_16_wgs_108_tpt_108_halfLds_half_ip_CI_unitstride_sbrr_dirReg,@function
fft_rtc_fwd_len1728_factors_3_6_6_16_wgs_108_tpt_108_halfLds_half_ip_CI_unitstride_sbrr_dirReg: ; @fft_rtc_fwd_len1728_factors_3_6_6_16_wgs_108_tpt_108_halfLds_half_ip_CI_unitstride_sbrr_dirReg
; %bb.0:
	s_load_dwordx2 s[12:13], s[4:5], 0x50
	s_load_dwordx4 s[8:11], s[4:5], 0x0
	s_load_dwordx2 s[2:3], s[4:5], 0x18
	v_mul_u32_u24_e32 v1, 0x25f, v0
	v_add_u32_sdwa v5, s6, v1 dst_sel:DWORD dst_unused:UNUSED_PAD src0_sel:DWORD src1_sel:WORD_1
	v_mov_b32_e32 v3, 0
	s_waitcnt lgkmcnt(0)
	v_cmp_lt_u64_e64 s[0:1], s[10:11], 2
	v_mov_b32_e32 v1, 0
	v_mov_b32_e32 v6, v3
	s_and_b64 vcc, exec, s[0:1]
	v_mov_b32_e32 v2, 0
	s_cbranch_vccnz .LBB0_8
; %bb.1:
	s_load_dwordx2 s[0:1], s[4:5], 0x10
	s_add_u32 s6, s2, 8
	s_addc_u32 s7, s3, 0
	v_mov_b32_e32 v1, 0
	v_mov_b32_e32 v2, 0
	s_waitcnt lgkmcnt(0)
	s_add_u32 s14, s0, 8
	s_addc_u32 s15, s1, 0
	s_mov_b64 s[16:17], 1
.LBB0_2:                                ; =>This Inner Loop Header: Depth=1
	s_load_dwordx2 s[18:19], s[14:15], 0x0
                                        ; implicit-def: $vgpr7_vgpr8
	s_waitcnt lgkmcnt(0)
	v_or_b32_e32 v4, s19, v6
	v_cmp_ne_u64_e32 vcc, 0, v[3:4]
	s_and_saveexec_b64 s[0:1], vcc
	s_xor_b64 s[20:21], exec, s[0:1]
	s_cbranch_execz .LBB0_4
; %bb.3:                                ;   in Loop: Header=BB0_2 Depth=1
	v_cvt_f32_u32_e32 v4, s18
	v_cvt_f32_u32_e32 v7, s19
	s_sub_u32 s0, 0, s18
	s_subb_u32 s1, 0, s19
	v_mac_f32_e32 v4, 0x4f800000, v7
	v_rcp_f32_e32 v4, v4
	v_mul_f32_e32 v4, 0x5f7ffffc, v4
	v_mul_f32_e32 v7, 0x2f800000, v4
	v_trunc_f32_e32 v7, v7
	v_mac_f32_e32 v4, 0xcf800000, v7
	v_cvt_u32_f32_e32 v7, v7
	v_cvt_u32_f32_e32 v4, v4
	v_mul_lo_u32 v8, s0, v7
	v_mul_hi_u32 v9, s0, v4
	v_mul_lo_u32 v11, s1, v4
	v_mul_lo_u32 v10, s0, v4
	v_add_u32_e32 v8, v9, v8
	v_add_u32_e32 v8, v8, v11
	v_mul_hi_u32 v9, v4, v10
	v_mul_lo_u32 v11, v4, v8
	v_mul_hi_u32 v13, v4, v8
	v_mul_hi_u32 v12, v7, v10
	v_mul_lo_u32 v10, v7, v10
	v_mul_hi_u32 v14, v7, v8
	v_add_co_u32_e32 v9, vcc, v9, v11
	v_addc_co_u32_e32 v11, vcc, 0, v13, vcc
	v_mul_lo_u32 v8, v7, v8
	v_add_co_u32_e32 v9, vcc, v9, v10
	v_addc_co_u32_e32 v9, vcc, v11, v12, vcc
	v_addc_co_u32_e32 v10, vcc, 0, v14, vcc
	v_add_co_u32_e32 v8, vcc, v9, v8
	v_addc_co_u32_e32 v9, vcc, 0, v10, vcc
	v_add_co_u32_e32 v4, vcc, v4, v8
	v_addc_co_u32_e32 v7, vcc, v7, v9, vcc
	v_mul_lo_u32 v8, s0, v7
	v_mul_hi_u32 v9, s0, v4
	v_mul_lo_u32 v10, s1, v4
	v_mul_lo_u32 v11, s0, v4
	v_add_u32_e32 v8, v9, v8
	v_add_u32_e32 v8, v8, v10
	v_mul_lo_u32 v12, v4, v8
	v_mul_hi_u32 v13, v4, v11
	v_mul_hi_u32 v14, v4, v8
	;; [unrolled: 1-line block ×3, first 2 shown]
	v_mul_lo_u32 v11, v7, v11
	v_mul_hi_u32 v9, v7, v8
	v_add_co_u32_e32 v12, vcc, v13, v12
	v_addc_co_u32_e32 v13, vcc, 0, v14, vcc
	v_mul_lo_u32 v8, v7, v8
	v_add_co_u32_e32 v11, vcc, v12, v11
	v_addc_co_u32_e32 v10, vcc, v13, v10, vcc
	v_addc_co_u32_e32 v9, vcc, 0, v9, vcc
	v_add_co_u32_e32 v8, vcc, v10, v8
	v_addc_co_u32_e32 v9, vcc, 0, v9, vcc
	v_add_co_u32_e32 v4, vcc, v4, v8
	v_addc_co_u32_e32 v9, vcc, v7, v9, vcc
	v_mad_u64_u32 v[7:8], s[0:1], v5, v9, 0
	v_mul_hi_u32 v10, v5, v4
	v_add_co_u32_e32 v11, vcc, v10, v7
	v_addc_co_u32_e32 v12, vcc, 0, v8, vcc
	v_mad_u64_u32 v[7:8], s[0:1], v6, v4, 0
	v_mad_u64_u32 v[9:10], s[0:1], v6, v9, 0
	v_add_co_u32_e32 v4, vcc, v11, v7
	v_addc_co_u32_e32 v4, vcc, v12, v8, vcc
	v_addc_co_u32_e32 v7, vcc, 0, v10, vcc
	v_add_co_u32_e32 v4, vcc, v4, v9
	v_addc_co_u32_e32 v9, vcc, 0, v7, vcc
	v_mul_lo_u32 v10, s19, v4
	v_mul_lo_u32 v11, s18, v9
	v_mad_u64_u32 v[7:8], s[0:1], s18, v4, 0
	v_add3_u32 v8, v8, v11, v10
	v_sub_u32_e32 v10, v6, v8
	v_mov_b32_e32 v11, s19
	v_sub_co_u32_e32 v7, vcc, v5, v7
	v_subb_co_u32_e64 v10, s[0:1], v10, v11, vcc
	v_subrev_co_u32_e64 v11, s[0:1], s18, v7
	v_subbrev_co_u32_e64 v10, s[0:1], 0, v10, s[0:1]
	v_cmp_le_u32_e64 s[0:1], s19, v10
	v_cndmask_b32_e64 v12, 0, -1, s[0:1]
	v_cmp_le_u32_e64 s[0:1], s18, v11
	v_cndmask_b32_e64 v11, 0, -1, s[0:1]
	v_cmp_eq_u32_e64 s[0:1], s19, v10
	v_cndmask_b32_e64 v10, v12, v11, s[0:1]
	v_add_co_u32_e64 v11, s[0:1], 2, v4
	v_addc_co_u32_e64 v12, s[0:1], 0, v9, s[0:1]
	v_add_co_u32_e64 v13, s[0:1], 1, v4
	v_addc_co_u32_e64 v14, s[0:1], 0, v9, s[0:1]
	v_subb_co_u32_e32 v8, vcc, v6, v8, vcc
	v_cmp_ne_u32_e64 s[0:1], 0, v10
	v_cmp_le_u32_e32 vcc, s19, v8
	v_cndmask_b32_e64 v10, v14, v12, s[0:1]
	v_cndmask_b32_e64 v12, 0, -1, vcc
	v_cmp_le_u32_e32 vcc, s18, v7
	v_cndmask_b32_e64 v7, 0, -1, vcc
	v_cmp_eq_u32_e32 vcc, s19, v8
	v_cndmask_b32_e32 v7, v12, v7, vcc
	v_cmp_ne_u32_e32 vcc, 0, v7
	v_cndmask_b32_e64 v7, v13, v11, s[0:1]
	v_cndmask_b32_e32 v8, v9, v10, vcc
	v_cndmask_b32_e32 v7, v4, v7, vcc
.LBB0_4:                                ;   in Loop: Header=BB0_2 Depth=1
	s_andn2_saveexec_b64 s[0:1], s[20:21]
	s_cbranch_execz .LBB0_6
; %bb.5:                                ;   in Loop: Header=BB0_2 Depth=1
	v_cvt_f32_u32_e32 v4, s18
	s_sub_i32 s20, 0, s18
	v_rcp_iflag_f32_e32 v4, v4
	v_mul_f32_e32 v4, 0x4f7ffffe, v4
	v_cvt_u32_f32_e32 v4, v4
	v_mul_lo_u32 v7, s20, v4
	v_mul_hi_u32 v7, v4, v7
	v_add_u32_e32 v4, v4, v7
	v_mul_hi_u32 v4, v5, v4
	v_mul_lo_u32 v7, v4, s18
	v_add_u32_e32 v8, 1, v4
	v_sub_u32_e32 v7, v5, v7
	v_subrev_u32_e32 v9, s18, v7
	v_cmp_le_u32_e32 vcc, s18, v7
	v_cndmask_b32_e32 v7, v7, v9, vcc
	v_cndmask_b32_e32 v4, v4, v8, vcc
	v_add_u32_e32 v8, 1, v4
	v_cmp_le_u32_e32 vcc, s18, v7
	v_cndmask_b32_e32 v7, v4, v8, vcc
	v_mov_b32_e32 v8, v3
.LBB0_6:                                ;   in Loop: Header=BB0_2 Depth=1
	s_or_b64 exec, exec, s[0:1]
	v_mul_lo_u32 v4, v8, s18
	v_mul_lo_u32 v11, v7, s19
	v_mad_u64_u32 v[9:10], s[0:1], v7, s18, 0
	s_load_dwordx2 s[0:1], s[6:7], 0x0
	s_add_u32 s16, s16, 1
	v_add3_u32 v4, v10, v11, v4
	v_sub_co_u32_e32 v5, vcc, v5, v9
	v_subb_co_u32_e32 v4, vcc, v6, v4, vcc
	s_waitcnt lgkmcnt(0)
	v_mul_lo_u32 v4, s0, v4
	v_mul_lo_u32 v6, s1, v5
	v_mad_u64_u32 v[1:2], s[0:1], s0, v5, v[1:2]
	s_addc_u32 s17, s17, 0
	s_add_u32 s6, s6, 8
	v_add3_u32 v2, v6, v2, v4
	v_mov_b32_e32 v4, s10
	v_mov_b32_e32 v5, s11
	s_addc_u32 s7, s7, 0
	v_cmp_ge_u64_e32 vcc, s[16:17], v[4:5]
	s_add_u32 s14, s14, 8
	s_addc_u32 s15, s15, 0
	s_cbranch_vccnz .LBB0_9
; %bb.7:                                ;   in Loop: Header=BB0_2 Depth=1
	v_mov_b32_e32 v5, v7
	v_mov_b32_e32 v6, v8
	s_branch .LBB0_2
.LBB0_8:
	v_mov_b32_e32 v8, v6
	v_mov_b32_e32 v7, v5
.LBB0_9:
	s_lshl_b64 s[0:1], s[10:11], 3
	s_add_u32 s0, s2, s0
	s_addc_u32 s1, s3, s1
	s_load_dwordx2 s[2:3], s[0:1], 0x0
	s_load_dwordx2 s[6:7], s[4:5], 0x20
                                        ; implicit-def: $vgpr6
                                        ; implicit-def: $vgpr35
                                        ; implicit-def: $vgpr11
                                        ; implicit-def: $vgpr41
                                        ; implicit-def: $vgpr26
                                        ; implicit-def: $vgpr34
                                        ; implicit-def: $vgpr15
                                        ; implicit-def: $vgpr36
                                        ; implicit-def: $vgpr43
                                        ; implicit-def: $vgpr18
                                        ; implicit-def: $vgpr40
                                        ; implicit-def: $vgpr16
                                        ; implicit-def: $vgpr44
                                        ; implicit-def: $vgpr9
                                        ; implicit-def: $vgpr46
                                        ; implicit-def: $vgpr20
                                        ; implicit-def: $vgpr45
                                        ; implicit-def: $vgpr17
                                        ; implicit-def: $vgpr47
                                        ; implicit-def: $vgpr10
                                        ; implicit-def: $vgpr49
                                        ; implicit-def: $vgpr21
                                        ; implicit-def: $vgpr48
                                        ; implicit-def: $vgpr19
                                        ; implicit-def: $vgpr51
                                        ; implicit-def: $vgpr23
                                        ; implicit-def: $vgpr52
                                        ; implicit-def: $vgpr24
                                        ; implicit-def: $vgpr29
                                        ; implicit-def: $vgpr22
                                        ; implicit-def: $vgpr33
                                        ; implicit-def: $vgpr28
                                        ; implicit-def: $vgpr31
                                        ; implicit-def: $vgpr27
	s_waitcnt lgkmcnt(0)
	v_mad_u64_u32 v[1:2], s[0:1], s2, v7, v[1:2]
	s_mov_b32 s0, 0x25ed098
	v_mul_lo_u32 v3, s2, v8
	v_mul_lo_u32 v4, s3, v7
	v_mul_hi_u32 v5, v0, s0
	v_cmp_gt_u64_e64 s[0:1], s[6:7], v[7:8]
                                        ; implicit-def: $vgpr8
	v_add3_u32 v2, v4, v2, v3
	v_mul_u32_u24_e32 v3, 0x6c, v5
	v_sub_u32_e32 v3, v0, v3
	v_lshlrev_b64 v[0:1], 2, v[1:2]
	v_mov_b32_e32 v2, 0
                                        ; implicit-def: $vgpr4
	s_and_saveexec_b64 s[2:3], s[0:1]
	s_cbranch_execz .LBB0_13
; %bb.10:
	v_mov_b32_e32 v4, 0
	v_mov_b32_e32 v2, s13
	v_add_co_u32_e32 v9, vcc, s12, v0
	v_lshlrev_b64 v[5:6], 2, v[3:4]
	v_addc_co_u32_e32 v2, vcc, v2, v1, vcc
	v_or_b32_e32 v7, 0x480, v3
	v_mov_b32_e32 v8, v4
	v_add_co_u32_e32 v5, vcc, v9, v5
	v_lshlrev_b64 v[7:8], 2, v[7:8]
	v_addc_co_u32_e32 v6, vcc, v2, v6, vcc
	v_add_co_u32_e32 v12, vcc, v9, v7
	v_addc_co_u32_e32 v13, vcc, v2, v8, vcc
	s_movk_i32 s4, 0x1000
	v_add_co_u32_e32 v27, vcc, s4, v5
	v_addc_co_u32_e32 v28, vcc, 0, v6, vcc
	global_load_dword v8, v[5:6], off offset:2736
	global_load_dword v9, v[5:6], off offset:3168
	global_load_dword v4, v[5:6], off
	global_load_dword v15, v[5:6], off offset:432
	global_load_dword v16, v[5:6], off offset:864
	;; [unrolled: 1-line block ×10, first 2 shown]
	global_load_dword v26, v[12:13], off
	global_load_dword v23, v[5:6], off offset:4032
	v_cmp_gt_u32_e32 vcc, 36, v3
                                        ; implicit-def: $vgpr27
                                        ; implicit-def: $vgpr31
                                        ; implicit-def: $vgpr28
                                        ; implicit-def: $vgpr33
                                        ; implicit-def: $vgpr22
                                        ; implicit-def: $vgpr29
	s_and_saveexec_b64 s[4:5], vcc
	s_cbranch_execz .LBB0_12
; %bb.11:
	v_add_co_u32_e32 v12, vcc, 0x1000, v5
	v_addc_co_u32_e32 v13, vcc, 0, v6, vcc
	global_load_dword v22, v[5:6], off offset:2160
	global_load_dword v27, v[12:13], off offset:368
	;; [unrolled: 1-line block ×3, first 2 shown]
	s_waitcnt vmcnt(2)
	v_lshrrev_b32_e32 v29, 16, v22
	s_waitcnt vmcnt(1)
	v_lshrrev_b32_e32 v31, 16, v27
	;; [unrolled: 2-line block ×3, first 2 shown]
.LBB0_12:
	s_or_b64 exec, exec, s[4:5]
	s_waitcnt vmcnt(12)
	v_lshrrev_b32_e32 v6, 16, v4
	s_waitcnt vmcnt(7)
	v_lshrrev_b32_e32 v35, 16, v11
	;; [unrolled: 2-line block ×3, first 2 shown]
	v_lshrrev_b32_e32 v34, 16, v15
	v_lshrrev_b32_e32 v36, 16, v8
	;; [unrolled: 1-line block ×10, first 2 shown]
	s_waitcnt vmcnt(0)
	v_lshrrev_b32_e32 v51, 16, v23
	v_lshrrev_b32_e32 v52, 16, v24
	v_mov_b32_e32 v2, v3
.LBB0_13:
	s_or_b64 exec, exec, s[2:3]
	v_add_f16_e32 v5, v11, v26
	v_fma_f16 v5, v5, -0.5, v4
	v_sub_f16_e32 v7, v35, v41
	s_movk_i32 s2, 0x3aee
	s_mov_b32 s3, 0xbaee
	v_fma_f16 v25, v7, s2, v5
	v_fma_f16 v5, v7, s3, v5
	v_add_f16_e32 v7, v8, v18
	v_fma_f16 v7, v7, -0.5, v15
	v_sub_f16_e32 v12, v36, v43
	v_fma_f16 v30, v12, s2, v7
	v_fma_f16 v32, v12, s3, v7
	v_add_f16_e32 v7, v9, v20
	v_fma_f16 v7, v7, -0.5, v16
	v_sub_f16_e32 v12, v44, v46
	v_add_f16_e32 v4, v4, v11
	v_fma_f16 v37, v12, s2, v7
	v_fma_f16 v38, v12, s3, v7
	v_add_f16_e32 v7, v10, v21
	v_add_f16_e32 v4, v4, v26
	v_mad_u32_u24 v53, v3, 6, 0
	v_fma_f16 v7, v7, -0.5, v17
	v_sub_f16_e32 v12, v47, v49
	ds_write_b16 v53, v4
	ds_write_b16 v53, v25 offset:2
	ds_write_b16 v53, v5 offset:4
	v_add_f16_e32 v4, v15, v8
	v_fma_f16 v39, v12, s2, v7
	v_fma_f16 v42, v12, s3, v7
	v_add_f16_e32 v7, v23, v24
	v_add_f16_e32 v4, v4, v18
	v_fma_f16 v7, v7, -0.5, v19
	v_sub_f16_e32 v12, v51, v52
	ds_write_b16 v53, v4 offset:648
	ds_write_b16 v53, v30 offset:650
	;; [unrolled: 1-line block ×3, first 2 shown]
	v_add_f16_e32 v4, v16, v9
	v_fma_f16 v14, v12, s2, v7
	v_fma_f16 v7, v12, s3, v7
	v_add_f16_e32 v12, v28, v27
	v_add_f16_e32 v4, v4, v20
	v_fma_f16 v12, v12, -0.5, v22
	v_sub_f16_e32 v50, v31, v33
	ds_write_b16 v53, v4 offset:1296
	ds_write_b16 v53, v37 offset:1298
	;; [unrolled: 1-line block ×3, first 2 shown]
	v_add_f16_e32 v4, v17, v10
	v_add_f16_e32 v5, v19, v23
	v_add_f16_e32 v15, v22, v27
	v_fma_f16 v13, v50, s2, v12
	v_fma_f16 v12, v50, s3, v12
	v_add_f16_e32 v4, v4, v21
	v_add_f16_e32 v5, v5, v24
	;; [unrolled: 1-line block ×3, first 2 shown]
	v_cmp_gt_u32_e64 s[2:3], 36, v3
	ds_write_b16 v53, v4 offset:1944
	ds_write_b16 v53, v39 offset:1946
	;; [unrolled: 1-line block ×6, first 2 shown]
	s_and_saveexec_b64 s[4:5], s[2:3]
	s_cbranch_execz .LBB0_15
; %bb.14:
	ds_write_b16 v53, v16 offset:3240
	ds_write_b16 v53, v13 offset:3242
	;; [unrolled: 1-line block ×3, first 2 shown]
.LBB0_15:
	s_or_b64 exec, exec, s[4:5]
	v_lshlrev_b32_e32 v4, 2, v3
	v_sub_u32_e32 v4, v53, v4
	s_waitcnt lgkmcnt(0)
	s_barrier
	ds_read_u16 v17, v4
	ds_read_u16 v38, v4 offset:2304
	ds_read_u16 v25, v4 offset:1944
	;; [unrolled: 1-line block ×11, first 2 shown]
	s_movk_i32 s4, 0x48
	v_cmp_gt_u32_e32 vcc, s4, v3
	s_and_saveexec_b64 s[4:5], vcc
	s_cbranch_execz .LBB0_17
; %bb.16:
	ds_read_u16 v5, v4 offset:432
	ds_read_u16 v14, v4 offset:1008
	;; [unrolled: 1-line block ×6, first 2 shown]
.LBB0_17:
	s_or_b64 exec, exec, s[4:5]
	v_add_f16_e32 v54, v6, v35
	v_add_f16_e32 v35, v35, v41
	v_fma_f16 v6, v35, -0.5, v6
	v_sub_f16_e32 v11, v11, v26
	s_mov_b32 s4, 0xbaee
	s_movk_i32 s5, 0x3aee
	v_add_f16_e32 v35, v36, v43
	v_fma_f16 v26, v11, s4, v6
	v_fma_f16 v6, v11, s5, v6
	v_add_f16_e32 v11, v34, v36
	v_fma_f16 v34, v35, -0.5, v34
	v_sub_f16_e32 v8, v8, v18
	v_fma_f16 v18, v8, s4, v34
	v_fma_f16 v8, v8, s5, v34
	v_add_f16_e32 v34, v40, v44
	v_add_f16_e32 v54, v54, v41
	;; [unrolled: 1-line block ×4, first 2 shown]
	v_fma_f16 v34, v34, -0.5, v40
	v_sub_f16_e32 v9, v9, v20
	v_fma_f16 v20, v9, s4, v34
	v_fma_f16 v40, v9, s5, v34
	v_add_f16_e32 v9, v45, v47
	v_add_f16_e32 v34, v51, v52
	;; [unrolled: 1-line block ×5, first 2 shown]
	v_fma_f16 v35, v34, -0.5, v48
	v_sub_f16_e32 v23, v23, v24
	v_fma_f16 v9, v9, -0.5, v45
	v_sub_f16_e32 v10, v10, v21
	v_fma_f16 v34, v23, s4, v35
	v_fma_f16 v24, v23, s5, v35
	v_add_f16_e32 v23, v29, v31
	v_add_f16_e32 v31, v33, v31
	v_fma_f16 v21, v10, s4, v9
	v_fma_f16 v10, v10, s5, v9
	v_add_f16_e32 v9, v48, v51
	v_fma_f16 v29, v31, -0.5, v29
	v_sub_f16_e32 v27, v27, v28
	v_add_f16_e32 v9, v9, v52
	v_add_f16_e32 v23, v33, v23
	v_fma_f16 v36, v27, s4, v29
	v_fma_f16 v35, v27, s5, v29
	s_waitcnt lgkmcnt(0)
	s_barrier
	ds_write_b16 v53, v54
	ds_write_b16 v53, v26 offset:2
	ds_write_b16 v53, v6 offset:4
	;; [unrolled: 1-line block ×14, first 2 shown]
	s_and_saveexec_b64 s[4:5], s[2:3]
	s_cbranch_execz .LBB0_19
; %bb.18:
	ds_write_b16 v53, v23 offset:3240
	ds_write_b16 v53, v36 offset:3242
	;; [unrolled: 1-line block ×3, first 2 shown]
.LBB0_19:
	s_or_b64 exec, exec, s[4:5]
	s_waitcnt lgkmcnt(0)
	s_barrier
	ds_read_u16 v11, v4
	ds_read_u16 v29, v4 offset:2304
	ds_read_u16 v33, v4 offset:1944
	;; [unrolled: 1-line block ×11, first 2 shown]
	s_and_saveexec_b64 s[2:3], vcc
	s_cbranch_execz .LBB0_21
; %bb.20:
	ds_read_u16 v9, v4 offset:432
	ds_read_u16 v34, v4 offset:1008
	;; [unrolled: 1-line block ×6, first 2 shown]
.LBB0_21:
	s_or_b64 exec, exec, s[2:3]
	s_movk_i32 s2, 0xab
	v_mul_lo_u16_sdwa v6, v3, s2 dst_sel:DWORD dst_unused:UNUSED_PAD src0_sel:BYTE_0 src1_sel:DWORD
	v_lshrrev_b16_e32 v62, 9, v6
	v_mul_lo_u16_e32 v6, 3, v62
	v_sub_u16_e32 v63, v3, v6
	v_mov_b32_e32 v6, 5
	v_mul_u32_u24_sdwa v8, v63, v6 dst_sel:DWORD dst_unused:UNUSED_PAD src0_sel:BYTE_0 src1_sel:DWORD
	v_lshlrev_b32_e32 v20, 2, v8
	v_add_u16_e32 v8, 0x6c, v3
	v_mul_lo_u16_sdwa v27, v8, s2 dst_sel:DWORD dst_unused:UNUSED_PAD src0_sel:BYTE_0 src1_sel:DWORD
	v_lshrrev_b16_e32 v64, 9, v27
	v_mul_lo_u16_e32 v27, 3, v64
	v_sub_u16_e32 v65, v8, v27
	v_mul_u32_u24_sdwa v6, v65, v6 dst_sel:DWORD dst_unused:UNUSED_PAD src0_sel:BYTE_0 src1_sel:DWORD
	global_load_dwordx4 v[44:47], v20, s[8:9]
	global_load_dword v48, v20, s[8:9] offset:16
	v_lshlrev_b32_e32 v20, 2, v6
	v_add_u32_e32 v6, 0xd8, v3
	s_mov_b32 s2, 0xaaab
	v_mul_u32_u24_sdwa v27, v6, s2 dst_sel:DWORD dst_unused:UNUSED_PAD src0_sel:WORD_0 src1_sel:DWORD
	v_lshrrev_b32_e32 v66, 17, v27
	v_mul_lo_u16_e32 v27, 3, v66
	global_load_dwordx4 v[51:54], v20, s[8:9]
	global_load_dword v49, v20, s[8:9] offset:16
	v_sub_u16_e32 v67, v6, v27
	v_mul_u32_u24_e32 v20, 5, v67
	v_lshlrev_b32_e32 v20, 2, v20
	global_load_dwordx4 v[55:58], v20, s[8:9]
	global_load_dword v59, v20, s[8:9] offset:16
	s_movk_i32 s2, 0x3aee
	s_mov_b32 s3, 0xbaee
	s_waitcnt vmcnt(0) lgkmcnt(0)
	s_barrier
	v_mul_f16_sdwa v20, v18, v44 dst_sel:DWORD dst_unused:UNUSED_PAD src0_sel:DWORD src1_sel:WORD_1
	v_mul_f16_sdwa v27, v50, v44 dst_sel:DWORD dst_unused:UNUSED_PAD src0_sel:DWORD src1_sel:WORD_1
	v_fma_f16 v50, v50, v44, -v20
	v_mul_f16_sdwa v20, v21, v45 dst_sel:DWORD dst_unused:UNUSED_PAD src0_sel:DWORD src1_sel:WORD_1
	v_fma_f16 v18, v18, v44, v27
	v_mul_f16_sdwa v27, v42, v45 dst_sel:DWORD dst_unused:UNUSED_PAD src0_sel:DWORD src1_sel:WORD_1
	v_fma_f16 v20, v42, v45, -v20
	v_mul_f16_sdwa v42, v26, v46 dst_sel:DWORD dst_unused:UNUSED_PAD src0_sel:DWORD src1_sel:WORD_1
	v_fma_f16 v21, v21, v45, v27
	v_mul_f16_sdwa v27, v39, v46 dst_sel:DWORD dst_unused:UNUSED_PAD src0_sel:DWORD src1_sel:WORD_1
	v_fma_f16 v44, v39, v46, -v42
	v_mul_f16_sdwa v42, v38, v47 dst_sel:DWORD dst_unused:UNUSED_PAD src0_sel:DWORD src1_sel:WORD_1
	v_mul_f16_sdwa v39, v29, v47 dst_sel:DWORD dst_unused:UNUSED_PAD src0_sel:DWORD src1_sel:WORD_1
	v_fma_f16 v26, v26, v46, v27
	v_fma_f16 v29, v29, v47, v42
	v_mul_f16_sdwa v42, v28, v51 dst_sel:DWORD dst_unused:UNUSED_PAD src0_sel:DWORD src1_sel:WORD_1
	v_mul_f16_sdwa v46, v31, v52 dst_sel:DWORD dst_unused:UNUSED_PAD src0_sel:DWORD src1_sel:WORD_1
	v_fma_f16 v27, v38, v47, -v39
	v_mul_f16_sdwa v45, v37, v51 dst_sel:DWORD dst_unused:UNUSED_PAD src0_sel:DWORD src1_sel:WORD_1
	v_mul_f16_sdwa v47, v30, v52 dst_sel:DWORD dst_unused:UNUSED_PAD src0_sel:DWORD src1_sel:WORD_1
	v_fma_f16 v60, v37, v51, -v42
	;; [unrolled: 3-line block ×3, first 2 shown]
	v_mul_f16_sdwa v46, v32, v54 dst_sel:DWORD dst_unused:UNUSED_PAD src0_sel:DWORD src1_sel:WORD_1
	v_fma_f16 v28, v28, v51, v45
	v_mul_f16_sdwa v45, v43, v54 dst_sel:DWORD dst_unused:UNUSED_PAD src0_sel:DWORD src1_sel:WORD_1
	v_fma_f16 v31, v31, v52, v47
	v_fma_f16 v25, v25, v53, -v37
	v_mul_f16_sdwa v47, v40, v49 dst_sel:DWORD dst_unused:UNUSED_PAD src0_sel:DWORD src1_sel:WORD_1
	v_fma_f16 v33, v33, v53, v42
	v_fma_f16 v37, v43, v54, v46
	v_mul_f16_sdwa v43, v14, v55 dst_sel:DWORD dst_unused:UNUSED_PAD src0_sel:DWORD src1_sel:WORD_1
	v_mul_f16_sdwa v46, v24, v56 dst_sel:DWORD dst_unused:UNUSED_PAD src0_sel:DWORD src1_sel:WORD_1
	v_mul_f16_sdwa v52, v23, v57 dst_sel:DWORD dst_unused:UNUSED_PAD src0_sel:DWORD src1_sel:WORD_1
	v_mul_f16_sdwa v53, v16, v57 dst_sel:DWORD dst_unused:UNUSED_PAD src0_sel:DWORD src1_sel:WORD_1
	v_mul_f16_sdwa v38, v41, v48 dst_sel:DWORD dst_unused:UNUSED_PAD src0_sel:DWORD src1_sel:WORD_1
	v_mul_f16_sdwa v39, v22, v48 dst_sel:DWORD dst_unused:UNUSED_PAD src0_sel:DWORD src1_sel:WORD_1
	v_mul_f16_sdwa v42, v19, v49 dst_sel:DWORD dst_unused:UNUSED_PAD src0_sel:DWORD src1_sel:WORD_1
	v_fma_f16 v32, v32, v54, -v45
	v_mul_f16_sdwa v45, v34, v55 dst_sel:DWORD dst_unused:UNUSED_PAD src0_sel:DWORD src1_sel:WORD_1
	v_mul_f16_sdwa v51, v7, v56 dst_sel:DWORD dst_unused:UNUSED_PAD src0_sel:DWORD src1_sel:WORD_1
	;; [unrolled: 1-line block ×3, first 2 shown]
	v_fma_f16 v68, v19, v49, -v47
	v_fma_f16 v19, v34, v55, v43
	v_fma_f16 v34, v7, v56, -v46
	v_fma_f16 v7, v16, v57, -v52
	v_fma_f16 v16, v23, v57, v53
	v_add_f16_e32 v23, v20, v27
	v_fma_f16 v22, v22, v48, -v38
	v_fma_f16 v38, v41, v48, v39
	v_mul_f16_sdwa v48, v13, v58 dst_sel:DWORD dst_unused:UNUSED_PAD src0_sel:DWORD src1_sel:WORD_1
	v_fma_f16 v41, v13, v58, -v54
	v_add_f16_e32 v13, v17, v20
	v_fma_f16 v17, v23, -0.5, v17
	v_sub_f16_e32 v23, v21, v29
	v_mul_f16_sdwa v47, v12, v59 dst_sel:DWORD dst_unused:UNUSED_PAD src0_sel:DWORD src1_sel:WORD_1
	v_fma_f16 v39, v24, v56, v51
	v_fma_f16 v24, v23, s2, v17
	;; [unrolled: 1-line block ×3, first 2 shown]
	v_add_f16_e32 v17, v50, v44
	v_mul_f16_sdwa v61, v35, v59 dst_sel:DWORD dst_unused:UNUSED_PAD src0_sel:DWORD src1_sel:WORD_1
	v_fma_f16 v43, v36, v58, v48
	v_fma_f16 v36, v35, v59, v47
	v_add_f16_e32 v35, v17, v22
	v_add_f16_e32 v17, v44, v22
	v_fma_f16 v42, v40, v49, v42
	v_fma_f16 v17, v17, -0.5, v50
	v_sub_f16_e32 v40, v26, v38
	v_fma_f16 v47, v40, s2, v17
	v_fma_f16 v17, v40, s3, v17
	v_add_f16_e32 v40, v26, v38
	v_fma_f16 v40, v40, -0.5, v18
	v_sub_f16_e32 v22, v44, v22
	v_fma_f16 v14, v14, v55, -v45
	v_fma_f16 v49, v22, s3, v40
	v_fma_f16 v48, v22, s2, v40
	v_mul_f16_e32 v45, -0.5, v17
	v_mul_f16_e32 v22, 0x3aee, v49
	v_fma_f16 v45, v48, s2, v45
	v_add_f16_e32 v13, v13, v27
	v_fma_f16 v22, v47, 0.5, v22
	v_add_f16_e32 v46, v23, v45
	v_sub_f16_e32 v45, v23, v45
	v_add_f16_e32 v23, v30, v32
	v_add_f16_e32 v40, v13, v35
	;; [unrolled: 1-line block ×3, first 2 shown]
	v_sub_f16_e32 v13, v13, v35
	v_sub_f16_e32 v35, v24, v22
	v_add_f16_e32 v22, v15, v30
	v_fma_f16 v15, v23, -0.5, v15
	v_sub_f16_e32 v23, v31, v37
	v_fma_f16 v24, v23, s2, v15
	v_fma_f16 v23, v23, s3, v15
	v_add_f16_e32 v15, v60, v25
	v_add_f16_e32 v50, v15, v68
	;; [unrolled: 1-line block ×3, first 2 shown]
	v_fma_f16 v15, v15, -0.5, v60
	v_sub_f16_e32 v52, v33, v42
	v_fma_f16 v51, v52, s2, v15
	v_fma_f16 v15, v52, s3, v15
	v_add_f16_e32 v52, v33, v42
	v_fma_f16 v52, v52, -0.5, v28
	v_sub_f16_e32 v25, v25, v68
	v_fma_f16 v55, v25, s3, v52
	v_fma_f16 v54, v25, s2, v52
	v_mul_f16_e32 v56, -0.5, v15
	v_mul_f16_e32 v25, 0x3aee, v55
	v_fma_f16 v56, v54, s2, v56
	v_fma_f16 v12, v12, v59, -v61
	v_add_f16_e32 v22, v22, v32
	v_fma_f16 v25, v51, 0.5, v25
	v_add_f16_e32 v57, v23, v56
	v_sub_f16_e32 v56, v23, v56
	v_add_f16_e32 v23, v34, v41
	v_add_f16_e32 v52, v22, v50
	;; [unrolled: 1-line block ×3, first 2 shown]
	v_sub_f16_e32 v50, v22, v50
	v_sub_f16_e32 v68, v24, v25
	v_add_f16_e32 v22, v5, v34
	v_fma_f16 v5, v23, -0.5, v5
	v_sub_f16_e32 v23, v39, v43
	v_add_f16_e32 v24, v7, v12
	v_fma_f16 v25, v23, s2, v5
	v_fma_f16 v5, v23, s3, v5
	v_add_f16_e32 v23, v14, v7
	v_fma_f16 v14, v24, -0.5, v14
	v_sub_f16_e32 v24, v16, v36
	v_fma_f16 v59, v24, s2, v14
	v_fma_f16 v58, v24, s3, v14
	v_add_f16_e32 v14, v16, v36
	v_fma_f16 v14, v14, -0.5, v19
	v_sub_f16_e32 v7, v7, v12
	v_fma_f16 v61, v7, s3, v14
	v_add_f16_e32 v23, v23, v12
	v_mul_f16_e32 v12, 0x3aee, v61
	v_add_f16_e32 v22, v22, v41
	v_fma_f16 v12, v59, 0.5, v12
	v_fma_f16 v60, v7, s2, v14
	v_add_f16_e32 v7, v22, v23
	v_sub_f16_e32 v22, v22, v23
	v_add_f16_e32 v24, v25, v12
	v_sub_f16_e32 v23, v25, v12
	v_mul_f16_e32 v12, -0.5, v58
	v_fma_f16 v12, v60, s2, v12
	v_add_f16_e32 v25, v5, v12
	v_sub_f16_e32 v14, v5, v12
	v_mov_b32_e32 v12, 1
	v_mul_u32_u24_e32 v5, 36, v62
	v_lshlrev_b32_sdwa v62, v12, v63 dst_sel:DWORD dst_unused:UNUSED_PAD src0_sel:DWORD src1_sel:BYTE_0
	v_add3_u32 v62, 0, v5, v62
	v_mul_u32_u24_e32 v5, 36, v64
	v_lshlrev_b32_sdwa v12, v12, v65 dst_sel:DWORD dst_unused:UNUSED_PAD src0_sel:DWORD src1_sel:BYTE_0
	v_add3_u32 v63, 0, v5, v12
	v_mul_lo_u16_e32 v64, 18, v66
	v_lshlrev_b32_e32 v65, 1, v67
	ds_write_b16 v62, v40
	ds_write_b16 v62, v44 offset:6
	ds_write_b16 v62, v46 offset:12
	;; [unrolled: 1-line block ×5, first 2 shown]
	ds_write_b16 v63, v52
	ds_write_b16 v63, v53 offset:6
	ds_write_b16 v63, v57 offset:12
	;; [unrolled: 1-line block ×5, first 2 shown]
	s_and_saveexec_b64 s[2:3], vcc
	s_cbranch_execz .LBB0_23
; %bb.22:
	v_lshlrev_b32_e32 v5, 1, v64
	v_add3_u32 v5, 0, v65, v5
	ds_write_b16 v5, v7
	ds_write_b16 v5, v24 offset:6
	ds_write_b16 v5, v25 offset:12
	;; [unrolled: 1-line block ×5, first 2 shown]
.LBB0_23:
	s_or_b64 exec, exec, s[2:3]
	s_waitcnt lgkmcnt(0)
	s_barrier
	ds_read_u16 v13, v4
	ds_read_u16 v50, v4 offset:2304
	ds_read_u16 v40, v4 offset:1944
	;; [unrolled: 1-line block ×11, first 2 shown]
	v_lshl_add_u32 v5, v3, 1, 0
	s_and_saveexec_b64 s[2:3], vcc
	s_cbranch_execz .LBB0_25
; %bb.24:
	ds_read_u16 v24, v4 offset:1008
	ds_read_u16 v25, v4 offset:1584
	;; [unrolled: 1-line block ×6, first 2 shown]
.LBB0_25:
	s_or_b64 exec, exec, s[2:3]
	v_add_f16_e32 v66, v11, v21
	v_add_f16_e32 v21, v21, v29
	v_fma_f16 v11, v21, -0.5, v11
	v_sub_f16_e32 v20, v20, v27
	s_mov_b32 s2, 0xbaee
	v_add_f16_e32 v18, v18, v26
	v_mul_f16_e32 v26, 0xbaee, v47
	v_add_f16_e32 v66, v66, v29
	v_fma_f16 v21, v20, s2, v11
	s_movk_i32 s3, 0x3aee
	v_fma_f16 v26, v49, 0.5, v26
	v_mul_f16_e32 v29, -0.5, v48
	v_fma_f16 v11, v20, s3, v11
	v_add_f16_e32 v27, v21, v26
	v_fma_f16 v17, v17, s2, v29
	v_sub_f16_e32 v21, v21, v26
	v_add_f16_e32 v26, v31, v37
	v_add_f16_e32 v29, v11, v17
	v_sub_f16_e32 v11, v11, v17
	v_add_f16_e32 v17, v10, v31
	v_fma_f16 v10, v26, -0.5, v10
	v_sub_f16_e32 v26, v30, v32
	v_fma_f16 v30, v26, s2, v10
	v_fma_f16 v10, v26, s3, v10
	v_add_f16_e32 v26, v28, v33
	v_add_f16_e32 v17, v17, v37
	;; [unrolled: 1-line block ×3, first 2 shown]
	v_mul_f16_e32 v33, -0.5, v54
	v_add_f16_e32 v28, v17, v26
	v_mul_f16_e32 v31, 0xbaee, v51
	v_fma_f16 v15, v15, s2, v33
	v_sub_f16_e32 v17, v17, v26
	v_add_f16_e32 v26, v39, v43
	v_fma_f16 v31, v55, 0.5, v31
	v_add_f16_e32 v33, v10, v15
	v_sub_f16_e32 v10, v10, v15
	v_add_f16_e32 v15, v9, v39
	v_fma_f16 v9, v26, -0.5, v9
	v_sub_f16_e32 v26, v34, v41
	v_add_f16_e32 v32, v30, v31
	v_sub_f16_e32 v30, v30, v31
	v_fma_f16 v31, v26, s2, v9
	v_fma_f16 v26, v26, s3, v9
	v_add_f16_e32 v9, v19, v16
	v_mul_f16_e32 v19, 0xbaee, v59
	v_mul_f16_e32 v34, -0.5, v60
	v_add_f16_e32 v18, v18, v38
	v_add_f16_e32 v15, v15, v43
	;; [unrolled: 1-line block ×3, first 2 shown]
	v_fma_f16 v19, v61, 0.5, v19
	v_fma_f16 v39, v58, s2, v34
	v_add_f16_e32 v20, v66, v18
	v_add_f16_e32 v9, v15, v16
	;; [unrolled: 1-line block ×4, first 2 shown]
	v_sub_f16_e32 v34, v15, v16
	v_sub_f16_e32 v37, v31, v19
	;; [unrolled: 1-line block ×4, first 2 shown]
	s_waitcnt lgkmcnt(0)
	s_barrier
	ds_write_b16 v62, v20
	ds_write_b16 v62, v27 offset:6
	ds_write_b16 v62, v29 offset:12
	;; [unrolled: 1-line block ×5, first 2 shown]
	ds_write_b16 v63, v28
	ds_write_b16 v63, v32 offset:6
	ds_write_b16 v63, v33 offset:12
	;; [unrolled: 1-line block ×5, first 2 shown]
	s_and_saveexec_b64 s[2:3], vcc
	s_cbranch_execz .LBB0_27
; %bb.26:
	v_lshlrev_b32_e32 v10, 1, v64
	v_add3_u32 v10, 0, v65, v10
	ds_write_b16 v10, v9
	ds_write_b16 v10, v36 offset:6
	ds_write_b16 v10, v38 offset:12
	;; [unrolled: 1-line block ×5, first 2 shown]
.LBB0_27:
	s_or_b64 exec, exec, s[2:3]
	s_waitcnt lgkmcnt(0)
	s_barrier
	ds_read_u16 v11, v4
	ds_read_u16 v20, v4 offset:2304
	ds_read_u16 v29, v4 offset:1944
	;; [unrolled: 1-line block ×11, first 2 shown]
	s_and_saveexec_b64 s[2:3], vcc
	s_cbranch_execz .LBB0_29
; %bb.28:
	ds_read_u16 v36, v4 offset:1008
	ds_read_u16 v38, v4 offset:1584
	;; [unrolled: 1-line block ×6, first 2 shown]
.LBB0_29:
	s_or_b64 exec, exec, s[2:3]
	v_mov_b32_e32 v31, 57
	v_mul_lo_u16_sdwa v16, v3, v31 dst_sel:DWORD dst_unused:UNUSED_PAD src0_sel:BYTE_0 src1_sel:DWORD
	v_lshrrev_b16_e32 v51, 10, v16
	v_mul_lo_u16_e32 v16, 18, v51
	v_sub_u16_e32 v54, v3, v16
	v_mov_b32_e32 v39, 5
	v_mul_u32_u24_sdwa v16, v54, v39 dst_sel:DWORD dst_unused:UNUSED_PAD src0_sel:BYTE_0 src1_sel:DWORD
	v_lshlrev_b32_e32 v41, 2, v16
	global_load_dwordx4 v[58:61], v41, s[8:9] offset:60
	s_mov_b32 s2, 0xe38f
	s_movk_i32 s5, 0x3aee
	s_mov_b32 s4, 0xbaee
	s_waitcnt vmcnt(0) lgkmcnt(4)
	v_mul_f16_sdwa v16, v15, v58 dst_sel:DWORD dst_unused:UNUSED_PAD src0_sel:DWORD src1_sel:WORD_1
	v_fma_f16 v43, v57, v58, -v16
	v_mul_f16_sdwa v16, v57, v58 dst_sel:DWORD dst_unused:UNUSED_PAD src0_sel:DWORD src1_sel:WORD_1
	v_mul_f16_sdwa v19, v56, v59 dst_sel:DWORD dst_unused:UNUSED_PAD src0_sel:DWORD src1_sel:WORD_1
	v_fma_f16 v15, v15, v58, v16
	v_mul_f16_sdwa v16, v18, v59 dst_sel:DWORD dst_unused:UNUSED_PAD src0_sel:DWORD src1_sel:WORD_1
	v_fma_f16 v18, v18, v59, v19
	v_mul_f16_sdwa v19, v17, v60 dst_sel:DWORD dst_unused:UNUSED_PAD src0_sel:DWORD src1_sel:WORD_1
	v_fma_f16 v55, v53, v60, -v19
	v_mul_f16_sdwa v19, v53, v60 dst_sel:DWORD dst_unused:UNUSED_PAD src0_sel:DWORD src1_sel:WORD_1
	v_mul_f16_sdwa v21, v50, v61 dst_sel:DWORD dst_unused:UNUSED_PAD src0_sel:DWORD src1_sel:WORD_1
	v_fma_f16 v17, v17, v60, v19
	v_mul_f16_sdwa v19, v20, v61 dst_sel:DWORD dst_unused:UNUSED_PAD src0_sel:DWORD src1_sel:WORD_1
	v_fma_f16 v21, v20, v61, v21
	global_load_dword v20, v41, s[8:9] offset:76
	v_fma_f16 v16, v56, v59, -v16
	v_fma_f16 v19, v50, v61, -v19
	s_waitcnt vmcnt(0) lgkmcnt(1)
	v_mul_f16_sdwa v41, v28, v20 dst_sel:DWORD dst_unused:UNUSED_PAD src0_sel:DWORD src1_sel:WORD_1
	v_fma_f16 v53, v52, v20, -v41
	v_mul_f16_sdwa v41, v52, v20 dst_sel:DWORD dst_unused:UNUSED_PAD src0_sel:DWORD src1_sel:WORD_1
	v_fma_f16 v20, v28, v20, v41
	v_mul_lo_u16_sdwa v28, v8, v31 dst_sel:DWORD dst_unused:UNUSED_PAD src0_sel:BYTE_0 src1_sel:DWORD
	v_lshrrev_b16_e32 v52, 10, v28
	v_mul_lo_u16_e32 v28, 18, v52
	v_sub_u16_e32 v56, v8, v28
	v_mul_u32_u24_sdwa v8, v56, v39 dst_sel:DWORD dst_unused:UNUSED_PAD src0_sel:BYTE_0 src1_sel:DWORD
	v_lshlrev_b32_e32 v8, 2, v8
	global_load_dwordx4 v[47:50], v8, s[8:9] offset:60
	s_waitcnt vmcnt(0)
	v_mul_f16_sdwa v28, v27, v47 dst_sel:DWORD dst_unused:UNUSED_PAD src0_sel:DWORD src1_sel:WORD_1
	global_load_dword v8, v8, s[8:9] offset:76
	v_fma_f16 v57, v46, v47, -v28
	v_mul_f16_sdwa v28, v46, v47 dst_sel:DWORD dst_unused:UNUSED_PAD src0_sel:DWORD src1_sel:WORD_1
	v_mul_f16_sdwa v31, v44, v48 dst_sel:DWORD dst_unused:UNUSED_PAD src0_sel:DWORD src1_sel:WORD_1
	v_fma_f16 v27, v27, v47, v28
	v_mul_f16_sdwa v28, v30, v48 dst_sel:DWORD dst_unused:UNUSED_PAD src0_sel:DWORD src1_sel:WORD_1
	v_fma_f16 v30, v30, v48, v31
	v_mul_f16_sdwa v31, v29, v49 dst_sel:DWORD dst_unused:UNUSED_PAD src0_sel:DWORD src1_sel:WORD_1
	v_fma_f16 v46, v40, v49, -v31
	v_mul_f16_sdwa v31, v40, v49 dst_sel:DWORD dst_unused:UNUSED_PAD src0_sel:DWORD src1_sel:WORD_1
	v_mul_f16_sdwa v39, v45, v50 dst_sel:DWORD dst_unused:UNUSED_PAD src0_sel:DWORD src1_sel:WORD_1
	v_fma_f16 v29, v29, v49, v31
	s_waitcnt lgkmcnt(0)
	v_mul_f16_sdwa v31, v33, v50 dst_sel:DWORD dst_unused:UNUSED_PAD src0_sel:DWORD src1_sel:WORD_1
	v_fma_f16 v33, v33, v50, v39
	v_fma_f16 v31, v45, v50, -v31
	v_fma_f16 v28, v44, v48, -v28
	s_waitcnt vmcnt(0)
	v_mul_f16_sdwa v39, v32, v8 dst_sel:DWORD dst_unused:UNUSED_PAD src0_sel:DWORD src1_sel:WORD_1
	v_fma_f16 v45, v35, v8, -v39
	v_mul_f16_sdwa v35, v35, v8 dst_sel:DWORD dst_unused:UNUSED_PAD src0_sel:DWORD src1_sel:WORD_1
	v_fma_f16 v32, v32, v8, v35
	v_mul_u32_u24_sdwa v8, v6, s2 dst_sel:DWORD dst_unused:UNUSED_PAD src0_sel:WORD_0 src1_sel:DWORD
	v_lshrrev_b32_e32 v8, 20, v8
	v_mul_lo_u16_e32 v35, 18, v8
	v_sub_u16_e32 v50, v6, v35
	v_mul_u32_u24_e32 v6, 5, v50
	v_lshlrev_b32_e32 v44, 2, v6
	global_load_dwordx4 v[39:42], v44, s[8:9] offset:60
	s_waitcnt vmcnt(0)
	v_mul_f16_sdwa v6, v36, v39 dst_sel:DWORD dst_unused:UNUSED_PAD src0_sel:DWORD src1_sel:WORD_1
	v_fma_f16 v35, v24, v39, -v6
	v_mul_f16_sdwa v6, v24, v39 dst_sel:DWORD dst_unused:UNUSED_PAD src0_sel:DWORD src1_sel:WORD_1
	v_mul_f16_sdwa v24, v38, v40 dst_sel:DWORD dst_unused:UNUSED_PAD src0_sel:DWORD src1_sel:WORD_1
	v_fma_f16 v24, v25, v40, -v24
	v_mul_f16_sdwa v25, v25, v40 dst_sel:DWORD dst_unused:UNUSED_PAD src0_sel:DWORD src1_sel:WORD_1
	v_fma_f16 v25, v38, v40, v25
	global_load_dword v38, v44, s[8:9] offset:76
	v_fma_f16 v6, v36, v39, v6
	v_mul_f16_sdwa v36, v34, v41 dst_sel:DWORD dst_unused:UNUSED_PAD src0_sel:DWORD src1_sel:WORD_1
	v_fma_f16 v36, v22, v41, -v36
	v_mul_f16_sdwa v22, v22, v41 dst_sel:DWORD dst_unused:UNUSED_PAD src0_sel:DWORD src1_sel:WORD_1
	v_fma_f16 v22, v34, v41, v22
	v_mul_f16_sdwa v34, v37, v42 dst_sel:DWORD dst_unused:UNUSED_PAD src0_sel:DWORD src1_sel:WORD_1
	v_fma_f16 v34, v23, v42, -v34
	v_mul_f16_sdwa v23, v23, v42 dst_sel:DWORD dst_unused:UNUSED_PAD src0_sel:DWORD src1_sel:WORD_1
	v_fma_f16 v23, v37, v42, v23
	v_sub_f16_e32 v42, v17, v20
	s_waitcnt vmcnt(0)
	s_barrier
	v_mul_f16_sdwa v37, v26, v38 dst_sel:DWORD dst_unused:UNUSED_PAD src0_sel:DWORD src1_sel:WORD_1
	v_fma_f16 v37, v14, v38, -v37
	v_mul_f16_sdwa v14, v14, v38 dst_sel:DWORD dst_unused:UNUSED_PAD src0_sel:DWORD src1_sel:WORD_1
	v_fma_f16 v26, v26, v38, v14
	v_add_f16_e32 v14, v13, v16
	v_add_f16_e32 v38, v14, v19
	v_add_f16_e32 v14, v16, v19
	v_fma_f16 v13, v14, -0.5, v13
	v_sub_f16_e32 v14, v18, v21
	v_fma_f16 v39, v14, s5, v13
	v_fma_f16 v40, v14, s4, v13
	v_add_f16_e32 v13, v43, v55
	v_add_f16_e32 v41, v13, v53
	;; [unrolled: 1-line block ×3, first 2 shown]
	v_fma_f16 v13, v13, -0.5, v43
	v_fma_f16 v14, v42, s5, v13
	v_fma_f16 v13, v42, s4, v13
	v_add_f16_e32 v42, v17, v20
	v_fma_f16 v42, v42, -0.5, v15
	v_sub_f16_e32 v43, v55, v53
	v_fma_f16 v44, v43, s4, v42
	v_mul_f16_e32 v47, 0x3aee, v44
	v_fma_f16 v47, v14, 0.5, v47
	v_fma_f16 v43, v43, s5, v42
	v_add_f16_e32 v53, v39, v47
	v_mul_f16_e32 v48, -0.5, v13
	v_sub_f16_e32 v59, v39, v47
	v_add_f16_e32 v39, v28, v31
	v_add_f16_e32 v42, v38, v41
	v_fma_f16 v48, v43, s5, v48
	v_sub_f16_e32 v58, v38, v41
	v_add_f16_e32 v38, v12, v28
	v_fma_f16 v12, v39, -0.5, v12
	v_sub_f16_e32 v39, v30, v33
	v_add_f16_e32 v55, v40, v48
	v_sub_f16_e32 v60, v40, v48
	v_fma_f16 v40, v39, s5, v12
	v_fma_f16 v39, v39, s4, v12
	v_add_f16_e32 v12, v57, v46
	v_add_f16_e32 v41, v12, v45
	;; [unrolled: 1-line block ×3, first 2 shown]
	v_fma_f16 v12, v12, -0.5, v57
	v_sub_f16_e32 v48, v29, v32
	v_fma_f16 v47, v48, s5, v12
	v_fma_f16 v12, v48, s4, v12
	v_add_f16_e32 v48, v29, v32
	v_fma_f16 v48, v48, -0.5, v27
	v_sub_f16_e32 v45, v46, v45
	v_fma_f16 v49, v45, s4, v48
	v_add_f16_e32 v38, v38, v31
	v_fma_f16 v48, v45, s5, v48
	v_mul_f16_e32 v45, 0x3aee, v49
	v_add_f16_e32 v57, v38, v41
	v_fma_f16 v45, v47, 0.5, v45
	v_mul_f16_e32 v46, -0.5, v12
	v_sub_f16_e32 v63, v38, v41
	v_add_f16_e32 v38, v36, v37
	v_add_f16_e32 v61, v40, v45
	v_fma_f16 v46, v48, s5, v46
	v_sub_f16_e32 v64, v40, v45
	v_fma_f16 v38, v38, -0.5, v35
	v_sub_f16_e32 v40, v22, v26
	v_add_f16_e32 v62, v39, v46
	v_sub_f16_e32 v65, v39, v46
	v_fma_f16 v39, v40, s5, v38
	v_fma_f16 v38, v40, s4, v38
	v_add_f16_e32 v40, v22, v26
	v_fma_f16 v40, v40, -0.5, v6
	v_sub_f16_e32 v45, v36, v37
	v_mov_b32_e32 v46, 1
	v_fma_f16 v41, v45, s4, v40
	v_fma_f16 v40, v45, s5, v40
	v_mul_u32_u24_e32 v45, 0xd8, v51
	v_lshlrev_b32_sdwa v51, v46, v54 dst_sel:DWORD dst_unused:UNUSED_PAD src0_sel:DWORD src1_sel:BYTE_0
	v_add3_u32 v45, 0, v45, v51
	ds_write_b16 v45, v42
	ds_write_b16 v45, v53 offset:36
	ds_write_b16 v45, v55 offset:72
	;; [unrolled: 1-line block ×5, first 2 shown]
	v_mul_u32_u24_e32 v42, 0xd8, v52
	v_lshlrev_b32_sdwa v46, v46, v56 dst_sel:DWORD dst_unused:UNUSED_PAD src0_sel:DWORD src1_sel:BYTE_0
	v_add3_u32 v46, 0, v42, v46
	v_lshlrev_b32_e32 v42, 1, v50
	ds_write_b16 v46, v57
	ds_write_b16 v46, v61 offset:36
	ds_write_b16 v46, v62 offset:72
	;; [unrolled: 1-line block ×5, first 2 shown]
	s_and_saveexec_b64 s[2:3], vcc
	s_cbranch_execz .LBB0_31
; %bb.30:
	v_add_f16_e32 v50, v24, v34
	v_fma_f16 v50, v50, -0.5, v7
	v_add_f16_e32 v7, v7, v24
	v_add_f16_e32 v35, v35, v36
	;; [unrolled: 1-line block ×4, first 2 shown]
	v_sub_f16_e32 v51, v25, v23
	v_sub_f16_e32 v36, v7, v35
	v_add_f16_e32 v7, v7, v35
	v_mul_lo_u16_e32 v35, 0x6c, v8
	v_fma_f16 v52, v51, s4, v50
	v_mul_f16_e32 v53, -0.5, v38
	v_fma_f16 v50, v51, s5, v50
	v_mul_f16_e32 v51, 0x3aee, v41
	v_lshlrev_b32_e32 v35, 1, v35
	v_fma_f16 v53, v40, s5, v53
	v_fma_f16 v51, v39, 0.5, v51
	v_add3_u32 v35, 0, v42, v35
	v_sub_f16_e32 v54, v52, v53
	v_sub_f16_e32 v55, v50, v51
	v_add_f16_e32 v37, v52, v53
	v_add_f16_e32 v50, v50, v51
	ds_write_b16 v35, v7
	ds_write_b16 v35, v50 offset:36
	ds_write_b16 v35, v37 offset:72
	;; [unrolled: 1-line block ×5, first 2 shown]
.LBB0_31:
	s_or_b64 exec, exec, s[2:3]
	v_add_f16_e32 v7, v11, v18
	v_add_f16_e32 v18, v18, v21
	v_fma_f16 v11, v18, -0.5, v11
	v_sub_f16_e32 v16, v16, v19
	v_fma_f16 v18, v16, s4, v11
	v_fma_f16 v11, v16, s5, v11
	v_mul_f16_e32 v16, -0.5, v43
	v_add_f16_e32 v15, v15, v17
	v_fma_f16 v13, v13, s4, v16
	v_add_f16_e32 v7, v7, v21
	v_add_f16_e32 v15, v15, v20
	v_mul_f16_e32 v14, 0xbaee, v14
	v_add_f16_e32 v37, v11, v13
	v_sub_f16_e32 v50, v11, v13
	v_add_f16_e32 v11, v30, v33
	v_add_f16_e32 v35, v7, v15
	v_fma_f16 v14, v44, 0.5, v14
	v_sub_f16_e32 v43, v7, v15
	v_add_f16_e32 v7, v10, v30
	v_fma_f16 v10, v11, -0.5, v10
	v_sub_f16_e32 v11, v28, v31
	v_add_f16_e32 v36, v18, v14
	v_sub_f16_e32 v44, v18, v14
	v_fma_f16 v13, v11, s4, v10
	v_fma_f16 v10, v11, s5, v10
	v_add_f16_e32 v11, v27, v29
	v_mul_f16_e32 v14, 0xbaee, v47
	v_mul_f16_e32 v15, -0.5, v48
	v_add_f16_e32 v7, v7, v33
	v_add_f16_e32 v11, v11, v32
	v_fma_f16 v14, v49, 0.5, v14
	v_fma_f16 v12, v12, s4, v15
	v_add_f16_e32 v30, v7, v11
	v_add_f16_e32 v31, v13, v14
	;; [unrolled: 1-line block ×3, first 2 shown]
	v_sub_f16_e32 v33, v7, v11
	v_sub_f16_e32 v47, v13, v14
	;; [unrolled: 1-line block ×3, first 2 shown]
	s_waitcnt lgkmcnt(0)
	s_barrier
	ds_read_u16 v18, v5 offset:648
	ds_read_u16 v10, v5 offset:864
	ds_read_u16 v13, v5 offset:1080
	ds_read_u16 v7, v4
	ds_read_u16 v14, v4 offset:216
	ds_read_u16 v21, v4 offset:1296
	;; [unrolled: 1-line block ×12, first 2 shown]
	s_waitcnt lgkmcnt(0)
	s_barrier
	ds_write_b16 v45, v35
	ds_write_b16 v45, v36 offset:36
	ds_write_b16 v45, v37 offset:72
	;; [unrolled: 1-line block ×5, first 2 shown]
	ds_write_b16 v46, v30
	ds_write_b16 v46, v31 offset:36
	ds_write_b16 v46, v32 offset:72
	;; [unrolled: 1-line block ×5, first 2 shown]
	s_and_saveexec_b64 s[2:3], vcc
	s_cbranch_execz .LBB0_33
; %bb.32:
	v_add_f16_e32 v30, v9, v25
	v_add_f16_e32 v30, v30, v23
	;; [unrolled: 1-line block ×3, first 2 shown]
	v_fma_f16 v9, v23, -0.5, v9
	v_sub_f16_e32 v23, v24, v34
	v_add_f16_e32 v6, v6, v22
	v_mul_lo_u16_e32 v8, 0x6c, v8
	v_fma_f16 v24, v23, s4, v9
	v_fma_f16 v9, v23, s5, v9
	v_add_f16_e32 v6, v6, v26
	v_mul_f16_e32 v23, 0xbaee, v39
	v_mul_f16_e32 v26, -0.5, v40
	v_lshlrev_b32_e32 v8, 1, v8
	v_add_f16_e32 v22, v30, v6
	v_fma_f16 v23, v41, 0.5, v23
	v_fma_f16 v26, v38, s4, v26
	v_add3_u32 v8, 0, v42, v8
	v_add_f16_e32 v25, v24, v23
	v_add_f16_e32 v31, v9, v26
	v_sub_f16_e32 v6, v30, v6
	v_sub_f16_e32 v23, v24, v23
	;; [unrolled: 1-line block ×3, first 2 shown]
	ds_write_b16 v8, v22
	ds_write_b16 v8, v25 offset:36
	ds_write_b16 v8, v31 offset:72
	;; [unrolled: 1-line block ×5, first 2 shown]
.LBB0_33:
	s_or_b64 exec, exec, s[2:3]
	s_waitcnt lgkmcnt(0)
	s_barrier
	s_and_saveexec_b64 s[2:3], s[0:1]
	s_cbranch_execz .LBB0_35
; %bb.34:
	v_mul_u32_u24_e32 v3, 15, v3
	v_lshlrev_b32_e32 v3, 2, v3
	global_load_dwordx4 v[22:25], v3, s[8:9] offset:436
	global_load_dwordx4 v[30:33], v3, s[8:9] offset:420
	;; [unrolled: 1-line block ×3, first 2 shown]
	global_load_dwordx3 v[38:40], v3, s[8:9] offset:468
	ds_read_u16 v3, v4 offset:2592
	ds_read_u16 v6, v5 offset:432
	;; [unrolled: 1-line block ×15, first 2 shown]
	ds_read_u16 v4, v4
	s_movk_i32 s0, 0x39a8
	s_mov_b32 s1, 0xb9a8
	s_mov_b32 s3, 0xbb64
	;; [unrolled: 1-line block ×3, first 2 shown]
	s_movk_i32 s5, 0x361f
	s_movk_i32 s4, 0x3b64
	s_waitcnt vmcnt(3) lgkmcnt(4)
	v_mul_f16_sdwa v50, v46, v25 dst_sel:DWORD dst_unused:UNUSED_PAD src0_sel:DWORD src1_sel:WORD_1
	s_waitcnt vmcnt(2)
	v_mul_f16_sdwa v53, v6, v31 dst_sel:DWORD dst_unused:UNUSED_PAD src0_sel:DWORD src1_sel:WORD_1
	v_mul_f16_sdwa v57, v29, v31 dst_sel:DWORD dst_unused:UNUSED_PAD src0_sel:DWORD src1_sel:WORD_1
	s_waitcnt vmcnt(1)
	v_mul_f16_sdwa v62, v26, v34 dst_sel:DWORD dst_unused:UNUSED_PAD src0_sel:DWORD src1_sel:WORD_1
	v_fma_f16 v29, v29, v31, -v53
	v_fma_f16 v6, v31, v6, v57
	v_fma_f16 v31, v16, v34, -v62
	v_mul_f16_sdwa v16, v16, v34 dst_sel:DWORD dst_unused:UNUSED_PAD src0_sel:DWORD src1_sel:WORD_1
	v_mul_f16_sdwa v51, v10, v33 dst_sel:DWORD dst_unused:UNUSED_PAD src0_sel:DWORD src1_sel:WORD_1
	v_mul_f16_sdwa v52, v11, v37 dst_sel:DWORD dst_unused:UNUSED_PAD src0_sel:DWORD src1_sel:WORD_1
	v_mul_f16_sdwa v54, v9, v35 dst_sel:DWORD dst_unused:UNUSED_PAD src0_sel:DWORD src1_sel:WORD_1
	v_mul_f16_sdwa v55, v21, v23 dst_sel:DWORD dst_unused:UNUSED_PAD src0_sel:DWORD src1_sel:WORD_1
	s_waitcnt vmcnt(0)
	v_mul_f16_sdwa v56, v27, v39 dst_sel:DWORD dst_unused:UNUSED_PAD src0_sel:DWORD src1_sel:WORD_1
	v_mul_f16_sdwa v58, v28, v35 dst_sel:DWORD dst_unused:UNUSED_PAD src0_sel:DWORD src1_sel:WORD_1
	s_waitcnt lgkmcnt(2)
	v_mul_f16_sdwa v59, v48, v23 dst_sel:DWORD dst_unused:UNUSED_PAD src0_sel:DWORD src1_sel:WORD_1
	v_mul_f16_sdwa v60, v43, v39 dst_sel:DWORD dst_unused:UNUSED_PAD src0_sel:DWORD src1_sel:WORD_1
	s_waitcnt lgkmcnt(1)
	v_mul_f16_sdwa v61, v49, v30 dst_sel:DWORD dst_unused:UNUSED_PAD src0_sel:DWORD src1_sel:WORD_1
	v_mul_f16_sdwa v63, v13, v22 dst_sel:DWORD dst_unused:UNUSED_PAD src0_sel:DWORD src1_sel:WORD_1
	v_fma_f16 v16, v34, v26, v16
	v_mul_f16_sdwa v26, v41, v22 dst_sel:DWORD dst_unused:UNUSED_PAD src0_sel:DWORD src1_sel:WORD_1
	v_mul_f16_sdwa v64, v15, v38 dst_sel:DWORD dst_unused:UNUSED_PAD src0_sel:DWORD src1_sel:WORD_1
	;; [unrolled: 1-line block ×10, first 2 shown]
	v_fma_f16 v50, v12, v25, -v50
	v_fma_f16 v51, v45, v33, v51
	v_fma_f16 v52, v3, v37, v52
	v_fma_f16 v28, v28, v35, -v54
	v_fma_f16 v48, v48, v23, v55
	v_fma_f16 v43, v43, v39, v56
	v_fma_f16 v9, v35, v9, v58
	v_fma_f16 v21, v21, v23, -v59
	v_fma_f16 v23, v27, v39, -v60
	;; [unrolled: 1-line block ×3, first 2 shown]
	v_fma_f16 v35, v41, v22, v63
	v_mul_f16_sdwa v14, v14, v30 dst_sel:DWORD dst_unused:UNUSED_PAD src0_sel:DWORD src1_sel:WORD_1
	v_fma_f16 v13, v13, v22, -v26
	v_mul_f16_sdwa v22, v44, v38 dst_sel:DWORD dst_unused:UNUSED_PAD src0_sel:DWORD src1_sel:WORD_1
	v_fma_f16 v39, v44, v38, v64
	v_fma_f16 v18, v18, v32, -v65
	v_fma_f16 v20, v20, v36, -v66
	v_fma_f16 v47, v47, v24, v67
	v_fma_f16 v42, v42, v40, v68
	;; [unrolled: 1-line block ×4, first 2 shown]
	v_fma_f16 v19, v19, v24, -v71
	v_sub_f16_e32 v24, v7, v50
	v_sub_f16_e32 v32, v51, v52
	;; [unrolled: 1-line block ×4, first 2 shown]
	v_fma_f16 v17, v17, v40, -v72
	v_fma_f16 v14, v30, v49, v14
	v_fma_f16 v15, v15, v38, -v22
	v_mul_f16_sdwa v12, v12, v25 dst_sel:DWORD dst_unused:UNUSED_PAD src0_sel:DWORD src1_sel:WORD_1
	v_sub_f16_e32 v9, v6, v9
	v_sub_f16_e32 v23, v21, v23
	;; [unrolled: 1-line block ×12, first 2 shown]
	v_fma_f16 v12, v25, v46, v12
	v_mul_f16_sdwa v25, v45, v33 dst_sel:DWORD dst_unused:UNUSED_PAD src0_sel:DWORD src1_sel:WORD_1
	v_mul_f16_sdwa v3, v3, v37 dst_sel:DWORD dst_unused:UNUSED_PAD src0_sel:DWORD src1_sel:WORD_1
	v_add_f16_e32 v52, v9, v23
	v_sub_f16_e32 v53, v31, v39
	v_sub_f16_e32 v54, v20, v42
	v_fma_f16 v55, v50, s0, v43
	v_add_f16_e32 v40, v8, v17
	v_add_f16_e32 v22, v16, v15
	v_fma_f16 v10, v10, v33, -v25
	v_fma_f16 v3, v11, v37, -v3
	v_fma_f16 v56, v54, s0, v53
	v_fma_f16 v55, v52, s1, v55
	;; [unrolled: 1-line block ×3, first 2 shown]
	s_waitcnt lgkmcnt(0)
	v_sub_f16_e32 v12, v4, v12
	v_sub_f16_e32 v3, v10, v3
	v_fma_f16 v57, v43, 2.0, -v55
	v_fma_f16 v56, v40, s1, v56
	v_fma_f16 v26, v54, s0, v26
	v_add_f16_e32 v11, v3, v12
	v_fma_f16 v37, v24, 2.0, -v43
	v_fma_f16 v43, v9, 2.0, -v52
	v_fma_f16 v40, v8, 2.0, -v40
	v_fma_f16 v7, v7, 2.0, -v24
	v_fma_f16 v3, v10, 2.0, -v3
	v_fma_f16 v6, v6, 2.0, -v9
	v_fma_f16 v9, v48, 2.0, -v36
	v_fma_f16 v24, v27, 2.0, -v31
	v_fma_f16 v13, v13, 2.0, -v15
	v_fma_f16 v5, v5, 2.0, -v8
	v_fma_f16 v8, v47, 2.0, -v42
	v_fma_f16 v30, v22, 2.0, -v26
	v_fma_f16 v22, v16, 2.0, -v22
	v_sub_f16_e32 v3, v7, v3
	v_sub_f16_e32 v9, v6, v9
	;; [unrolled: 1-line block ×4, first 2 shown]
	v_fma_f16 v14, v14, 2.0, -v16
	v_fma_f16 v16, v35, 2.0, -v39
	;; [unrolled: 1-line block ×4, first 2 shown]
	v_fma_f16 v25, v52, s0, v11
	v_sub_f16_e32 v10, v3, v9
	v_sub_f16_e32 v15, v13, v8
	;; [unrolled: 1-line block ×4, first 2 shown]
	v_fma_f16 v25, v50, s0, v25
	v_fma_f16 v27, v15, s0, v10
	v_add_f16_e32 v19, v16, v17
	v_fma_f16 v33, v11, 2.0, -v25
	v_fma_f16 v45, v20, 2.0, -v54
	;; [unrolled: 1-line block ×3, first 2 shown]
	v_fma_f16 v20, v19, s1, v27
	v_fma_f16 v4, v4, 2.0, -v12
	v_fma_f16 v12, v51, 2.0, -v32
	;; [unrolled: 1-line block ×4, first 2 shown]
	v_sub_f16_e32 v12, v4, v12
	v_sub_f16_e32 v21, v27, v21
	v_add_f16_e32 v23, v21, v12
	v_fma_f16 v32, v3, 2.0, -v10
	v_fma_f16 v3, v7, 2.0, -v3
	;; [unrolled: 1-line block ×6, first 2 shown]
	v_sub_f16_e32 v7, v3, v7
	v_sub_f16_e32 v5, v14, v5
	v_fma_f16 v4, v4, 2.0, -v12
	v_fma_f16 v6, v6, 2.0, -v9
	;; [unrolled: 1-line block ×6, first 2 shown]
	v_fma_f16 v28, v19, s0, v23
	v_sub_f16_e32 v8, v7, v5
	v_sub_f16_e32 v12, v9, v12
	v_fma_f16 v41, v38, s1, v37
	v_fma_f16 v46, v45, s1, v44
	;; [unrolled: 1-line block ×3, first 2 shown]
	v_fma_f16 v15, v13, 2.0, -v15
	v_sub_f16_e32 v6, v4, v6
	v_fma_f16 v18, v7, 2.0, -v8
	v_fma_f16 v3, v3, 2.0, -v7
	v_fma_f16 v7, v9, 2.0, -v12
	v_fma_f16 v41, v43, s1, v41
	v_fma_f16 v46, v40, s1, v46
	;; [unrolled: 1-line block ×5, first 2 shown]
	v_fma_f16 v19, v16, 2.0, -v19
	v_add_f16_e32 v13, v6, v12
	v_sub_f16_e32 v7, v3, v7
	v_fma_f16 v40, v45, s0, v40
	v_fma_f16 v38, v38, s0, v43
	;; [unrolled: 1-line block ×3, first 2 shown]
	v_fma_f16 v21, v6, 2.0, -v13
	v_fma_f16 v24, v37, 2.0, -v41
	;; [unrolled: 1-line block ×7, first 2 shown]
	v_mov_b32_e32 v3, 0
	v_mov_b32_e32 v12, s13
	v_add_co_u32_e32 v14, vcc, s12, v0
	v_fma_f16 v16, v32, 2.0, -v35
	v_fma_f16 v32, v27, s3, v24
	v_fma_f16 v22, v22, 2.0, -v40
	v_fma_f16 v11, v11, 2.0, -v38
	v_addc_co_u32_e32 v12, vcc, v12, v1, vcc
	v_lshlrev_b64 v[0:1], 2, v[2:3]
	v_fma_f16 v58, v53, 2.0, -v56
	v_fma_f16 v32, v22, s2, v32
	v_fma_f16 v22, v22, s3, v11
	v_sub_f16_e32 v5, v4, v5
	v_fma_f16 v59, v58, s2, v57
	v_fma_f16 v19, v19, s1, v36
	v_fma_f16 v22, v27, s5, v22
	v_fma_f16 v4, v4, 2.0, -v5
	v_add_co_u32_e32 v0, vcc, v14, v0
	v_fma_f16 v34, v30, s3, v59
	v_fma_f16 v30, v30, s2, v33
	;; [unrolled: 1-line block ×3, first 2 shown]
	v_fma_f16 v24, v24, 2.0, -v32
	v_fma_f16 v11, v11, 2.0, -v22
	v_addc_co_u32_e32 v1, vcc, v12, v1, vcc
	v_pack_b32_f16 v2, v10, v4
	v_fma_f16 v30, v58, s4, v30
	v_fma_f16 v17, v36, 2.0, -v15
	global_store_dword v[0:1], v2, off
	v_pack_b32_f16 v2, v24, v11
	v_fma_f16 v49, v46, s5, v41
	v_fma_f16 v43, v40, s5, v38
	v_fma_f16 v19, v57, 2.0, -v34
	v_fma_f16 v33, v33, 2.0, -v30
	global_store_dword v[0:1], v2, off offset:432
	v_pack_b32_f16 v2, v16, v17
	v_fma_f16 v45, v40, s3, v49
	v_fma_f16 v43, v46, s4, v43
	v_fma_f16 v49, v56, s4, v55
	global_store_dword v[0:1], v2, off offset:864
	v_pack_b32_f16 v2, v19, v33
	v_fma_f16 v49, v26, s2, v49
	v_fma_f16 v26, v26, s4, v25
	v_fma_f16 v29, v41, 2.0, -v45
	v_fma_f16 v31, v38, 2.0, -v43
	global_store_dword v[0:1], v2, off offset:1296
	v_pack_b32_f16 v2, v18, v21
	v_fma_f16 v26, v56, s5, v26
	v_fma_f16 v9, v23, 2.0, -v28
	global_store_dword v[0:1], v2, off offset:1728
	v_pack_b32_f16 v2, v29, v31
	v_fma_f16 v50, v55, 2.0, -v49
	v_fma_f16 v25, v25, 2.0, -v26
	global_store_dword v[0:1], v2, off offset:2160
	v_pack_b32_f16 v2, v6, v9
	global_store_dword v[0:1], v2, off offset:2592
	v_pack_b32_f16 v2, v50, v25
	;; [unrolled: 2-line block ×4, first 2 shown]
	global_store_dword v[0:1], v2, off offset:3888
	v_add_co_u32_e32 v0, vcc, 0x1000, v0
	v_pack_b32_f16 v2, v35, v15
	v_addc_co_u32_e32 v1, vcc, 0, v1, vcc
	global_store_dword v[0:1], v2, off offset:224
	v_pack_b32_f16 v2, v34, v30
	global_store_dword v[0:1], v2, off offset:656
	v_pack_b32_f16 v2, v8, v13
	global_store_dword v[0:1], v2, off offset:1088
	v_pack_b32_f16 v2, v45, v43
	global_store_dword v[0:1], v2, off offset:1520
	v_pack_b32_f16 v2, v20, v28
	global_store_dword v[0:1], v2, off offset:1952
	v_pack_b32_f16 v2, v49, v26
	global_store_dword v[0:1], v2, off offset:2384
.LBB0_35:
	s_endpgm
	.section	.rodata,"a",@progbits
	.p2align	6, 0x0
	.amdhsa_kernel fft_rtc_fwd_len1728_factors_3_6_6_16_wgs_108_tpt_108_halfLds_half_ip_CI_unitstride_sbrr_dirReg
		.amdhsa_group_segment_fixed_size 0
		.amdhsa_private_segment_fixed_size 0
		.amdhsa_kernarg_size 88
		.amdhsa_user_sgpr_count 6
		.amdhsa_user_sgpr_private_segment_buffer 1
		.amdhsa_user_sgpr_dispatch_ptr 0
		.amdhsa_user_sgpr_queue_ptr 0
		.amdhsa_user_sgpr_kernarg_segment_ptr 1
		.amdhsa_user_sgpr_dispatch_id 0
		.amdhsa_user_sgpr_flat_scratch_init 0
		.amdhsa_user_sgpr_private_segment_size 0
		.amdhsa_uses_dynamic_stack 0
		.amdhsa_system_sgpr_private_segment_wavefront_offset 0
		.amdhsa_system_sgpr_workgroup_id_x 1
		.amdhsa_system_sgpr_workgroup_id_y 0
		.amdhsa_system_sgpr_workgroup_id_z 0
		.amdhsa_system_sgpr_workgroup_info 0
		.amdhsa_system_vgpr_workitem_id 0
		.amdhsa_next_free_vgpr 73
		.amdhsa_next_free_sgpr 22
		.amdhsa_reserve_vcc 1
		.amdhsa_reserve_flat_scratch 0
		.amdhsa_float_round_mode_32 0
		.amdhsa_float_round_mode_16_64 0
		.amdhsa_float_denorm_mode_32 3
		.amdhsa_float_denorm_mode_16_64 3
		.amdhsa_dx10_clamp 1
		.amdhsa_ieee_mode 1
		.amdhsa_fp16_overflow 0
		.amdhsa_exception_fp_ieee_invalid_op 0
		.amdhsa_exception_fp_denorm_src 0
		.amdhsa_exception_fp_ieee_div_zero 0
		.amdhsa_exception_fp_ieee_overflow 0
		.amdhsa_exception_fp_ieee_underflow 0
		.amdhsa_exception_fp_ieee_inexact 0
		.amdhsa_exception_int_div_zero 0
	.end_amdhsa_kernel
	.text
.Lfunc_end0:
	.size	fft_rtc_fwd_len1728_factors_3_6_6_16_wgs_108_tpt_108_halfLds_half_ip_CI_unitstride_sbrr_dirReg, .Lfunc_end0-fft_rtc_fwd_len1728_factors_3_6_6_16_wgs_108_tpt_108_halfLds_half_ip_CI_unitstride_sbrr_dirReg
                                        ; -- End function
	.section	.AMDGPU.csdata,"",@progbits
; Kernel info:
; codeLenInByte = 8940
; NumSgprs: 26
; NumVgprs: 73
; ScratchSize: 0
; MemoryBound: 0
; FloatMode: 240
; IeeeMode: 1
; LDSByteSize: 0 bytes/workgroup (compile time only)
; SGPRBlocks: 3
; VGPRBlocks: 18
; NumSGPRsForWavesPerEU: 26
; NumVGPRsForWavesPerEU: 73
; Occupancy: 3
; WaveLimiterHint : 1
; COMPUTE_PGM_RSRC2:SCRATCH_EN: 0
; COMPUTE_PGM_RSRC2:USER_SGPR: 6
; COMPUTE_PGM_RSRC2:TRAP_HANDLER: 0
; COMPUTE_PGM_RSRC2:TGID_X_EN: 1
; COMPUTE_PGM_RSRC2:TGID_Y_EN: 0
; COMPUTE_PGM_RSRC2:TGID_Z_EN: 0
; COMPUTE_PGM_RSRC2:TIDIG_COMP_CNT: 0
	.type	__hip_cuid_dd1ead867ca15232,@object ; @__hip_cuid_dd1ead867ca15232
	.section	.bss,"aw",@nobits
	.globl	__hip_cuid_dd1ead867ca15232
__hip_cuid_dd1ead867ca15232:
	.byte	0                               ; 0x0
	.size	__hip_cuid_dd1ead867ca15232, 1

	.ident	"AMD clang version 19.0.0git (https://github.com/RadeonOpenCompute/llvm-project roc-6.4.0 25133 c7fe45cf4b819c5991fe208aaa96edf142730f1d)"
	.section	".note.GNU-stack","",@progbits
	.addrsig
	.addrsig_sym __hip_cuid_dd1ead867ca15232
	.amdgpu_metadata
---
amdhsa.kernels:
  - .args:
      - .actual_access:  read_only
        .address_space:  global
        .offset:         0
        .size:           8
        .value_kind:     global_buffer
      - .offset:         8
        .size:           8
        .value_kind:     by_value
      - .actual_access:  read_only
        .address_space:  global
        .offset:         16
        .size:           8
        .value_kind:     global_buffer
      - .actual_access:  read_only
        .address_space:  global
        .offset:         24
        .size:           8
        .value_kind:     global_buffer
      - .offset:         32
        .size:           8
        .value_kind:     by_value
      - .actual_access:  read_only
        .address_space:  global
        .offset:         40
        .size:           8
        .value_kind:     global_buffer
      - .actual_access:  read_only
        .address_space:  global
        .offset:         48
        .size:           8
        .value_kind:     global_buffer
      - .offset:         56
        .size:           4
        .value_kind:     by_value
      - .actual_access:  read_only
        .address_space:  global
        .offset:         64
        .size:           8
        .value_kind:     global_buffer
      - .actual_access:  read_only
        .address_space:  global
        .offset:         72
        .size:           8
        .value_kind:     global_buffer
      - .address_space:  global
        .offset:         80
        .size:           8
        .value_kind:     global_buffer
    .group_segment_fixed_size: 0
    .kernarg_segment_align: 8
    .kernarg_segment_size: 88
    .language:       OpenCL C
    .language_version:
      - 2
      - 0
    .max_flat_workgroup_size: 108
    .name:           fft_rtc_fwd_len1728_factors_3_6_6_16_wgs_108_tpt_108_halfLds_half_ip_CI_unitstride_sbrr_dirReg
    .private_segment_fixed_size: 0
    .sgpr_count:     26
    .sgpr_spill_count: 0
    .symbol:         fft_rtc_fwd_len1728_factors_3_6_6_16_wgs_108_tpt_108_halfLds_half_ip_CI_unitstride_sbrr_dirReg.kd
    .uniform_work_group_size: 1
    .uses_dynamic_stack: false
    .vgpr_count:     73
    .vgpr_spill_count: 0
    .wavefront_size: 64
amdhsa.target:   amdgcn-amd-amdhsa--gfx906
amdhsa.version:
  - 1
  - 2
...

	.end_amdgpu_metadata
